;; amdgpu-corpus repo=ROCm/rocFFT kind=compiled arch=gfx1201 opt=O3
	.text
	.amdgcn_target "amdgcn-amd-amdhsa--gfx1201"
	.amdhsa_code_object_version 6
	.protected	fft_rtc_fwd_len616_factors_11_7_8_wgs_88_tpt_88_half_op_CI_CI_unitstride_sbrr_R2C_dirReg ; -- Begin function fft_rtc_fwd_len616_factors_11_7_8_wgs_88_tpt_88_half_op_CI_CI_unitstride_sbrr_R2C_dirReg
	.globl	fft_rtc_fwd_len616_factors_11_7_8_wgs_88_tpt_88_half_op_CI_CI_unitstride_sbrr_R2C_dirReg
	.p2align	8
	.type	fft_rtc_fwd_len616_factors_11_7_8_wgs_88_tpt_88_half_op_CI_CI_unitstride_sbrr_R2C_dirReg,@function
fft_rtc_fwd_len616_factors_11_7_8_wgs_88_tpt_88_half_op_CI_CI_unitstride_sbrr_R2C_dirReg: ; @fft_rtc_fwd_len616_factors_11_7_8_wgs_88_tpt_88_half_op_CI_CI_unitstride_sbrr_R2C_dirReg
; %bb.0:
	s_clause 0x2
	s_load_b128 s[8:11], s[0:1], 0x0
	s_load_b128 s[4:7], s[0:1], 0x58
	;; [unrolled: 1-line block ×3, first 2 shown]
	v_mul_u32_u24_e32 v1, 0x2e9, v0
	v_mov_b32_e32 v3, 0
	v_mov_b32_e32 v7, 0
	;; [unrolled: 1-line block ×3, first 2 shown]
	s_delay_alu instid0(VALU_DEP_4) | instskip(NEXT) | instid1(VALU_DEP_1)
	v_lshrrev_b32_e32 v1, 16, v1
	v_dual_mov_b32 v10, v3 :: v_dual_add_nc_u32 v9, ttmp9, v1
	s_wait_kmcnt 0x0
	v_cmp_lt_u64_e64 s2, s[10:11], 2
	s_delay_alu instid0(VALU_DEP_1)
	s_and_b32 vcc_lo, exec_lo, s2
	s_cbranch_vccnz .LBB0_8
; %bb.1:
	s_load_b64 s[2:3], s[0:1], 0x10
	v_mov_b32_e32 v7, 0
	v_mov_b32_e32 v8, 0
	s_delay_alu instid0(VALU_DEP_2)
	v_mov_b32_e32 v1, v7
	s_add_nc_u64 s[16:17], s[14:15], 8
	s_add_nc_u64 s[18:19], s[12:13], 8
	s_mov_b64 s[20:21], 1
	v_mov_b32_e32 v2, v8
	s_wait_kmcnt 0x0
	s_add_nc_u64 s[22:23], s[2:3], 8
	s_mov_b32 s3, 0
.LBB0_2:                                ; =>This Inner Loop Header: Depth=1
	s_load_b64 s[24:25], s[22:23], 0x0
                                        ; implicit-def: $vgpr5_vgpr6
	s_mov_b32 s2, exec_lo
	s_wait_kmcnt 0x0
	v_or_b32_e32 v4, s25, v10
	s_delay_alu instid0(VALU_DEP_1)
	v_cmpx_ne_u64_e32 0, v[3:4]
	s_wait_alu 0xfffe
	s_xor_b32 s26, exec_lo, s2
	s_cbranch_execz .LBB0_4
; %bb.3:                                ;   in Loop: Header=BB0_2 Depth=1
	s_cvt_f32_u32 s2, s24
	s_cvt_f32_u32 s27, s25
	s_sub_nc_u64 s[30:31], 0, s[24:25]
	s_wait_alu 0xfffe
	s_delay_alu instid0(SALU_CYCLE_1) | instskip(SKIP_1) | instid1(SALU_CYCLE_2)
	s_fmamk_f32 s2, s27, 0x4f800000, s2
	s_wait_alu 0xfffe
	v_s_rcp_f32 s2, s2
	s_delay_alu instid0(TRANS32_DEP_1) | instskip(SKIP_1) | instid1(SALU_CYCLE_2)
	s_mul_f32 s2, s2, 0x5f7ffffc
	s_wait_alu 0xfffe
	s_mul_f32 s27, s2, 0x2f800000
	s_wait_alu 0xfffe
	s_delay_alu instid0(SALU_CYCLE_2) | instskip(SKIP_1) | instid1(SALU_CYCLE_2)
	s_trunc_f32 s27, s27
	s_wait_alu 0xfffe
	s_fmamk_f32 s2, s27, 0xcf800000, s2
	s_cvt_u32_f32 s29, s27
	s_wait_alu 0xfffe
	s_delay_alu instid0(SALU_CYCLE_1) | instskip(SKIP_1) | instid1(SALU_CYCLE_2)
	s_cvt_u32_f32 s28, s2
	s_wait_alu 0xfffe
	s_mul_u64 s[34:35], s[30:31], s[28:29]
	s_wait_alu 0xfffe
	s_mul_hi_u32 s37, s28, s35
	s_mul_i32 s36, s28, s35
	s_mul_hi_u32 s2, s28, s34
	s_mul_i32 s33, s29, s34
	s_wait_alu 0xfffe
	s_add_nc_u64 s[36:37], s[2:3], s[36:37]
	s_mul_hi_u32 s27, s29, s34
	s_mul_hi_u32 s38, s29, s35
	s_add_co_u32 s2, s36, s33
	s_wait_alu 0xfffe
	s_add_co_ci_u32 s2, s37, s27
	s_mul_i32 s34, s29, s35
	s_add_co_ci_u32 s35, s38, 0
	s_wait_alu 0xfffe
	s_add_nc_u64 s[34:35], s[2:3], s[34:35]
	s_wait_alu 0xfffe
	v_add_co_u32 v4, s2, s28, s34
	s_delay_alu instid0(VALU_DEP_1) | instskip(SKIP_1) | instid1(VALU_DEP_1)
	s_cmp_lg_u32 s2, 0
	s_add_co_ci_u32 s29, s29, s35
	v_readfirstlane_b32 s28, v4
	s_wait_alu 0xfffe
	s_delay_alu instid0(VALU_DEP_1)
	s_mul_u64 s[30:31], s[30:31], s[28:29]
	s_wait_alu 0xfffe
	s_mul_hi_u32 s35, s28, s31
	s_mul_i32 s34, s28, s31
	s_mul_hi_u32 s2, s28, s30
	s_mul_i32 s33, s29, s30
	s_wait_alu 0xfffe
	s_add_nc_u64 s[34:35], s[2:3], s[34:35]
	s_mul_hi_u32 s27, s29, s30
	s_mul_hi_u32 s28, s29, s31
	s_wait_alu 0xfffe
	s_add_co_u32 s2, s34, s33
	s_add_co_ci_u32 s2, s35, s27
	s_mul_i32 s30, s29, s31
	s_add_co_ci_u32 s31, s28, 0
	s_wait_alu 0xfffe
	s_add_nc_u64 s[30:31], s[2:3], s[30:31]
	s_wait_alu 0xfffe
	v_add_co_u32 v6, s2, v4, s30
	s_delay_alu instid0(VALU_DEP_1) | instskip(SKIP_1) | instid1(VALU_DEP_1)
	s_cmp_lg_u32 s2, 0
	s_add_co_ci_u32 s2, s29, s31
	v_mul_hi_u32 v15, v9, v6
	s_wait_alu 0xfffe
	v_mad_co_u64_u32 v[4:5], null, v9, s2, 0
	v_mad_co_u64_u32 v[11:12], null, v10, v6, 0
	;; [unrolled: 1-line block ×3, first 2 shown]
	s_delay_alu instid0(VALU_DEP_3) | instskip(SKIP_1) | instid1(VALU_DEP_4)
	v_add_co_u32 v4, vcc_lo, v15, v4
	s_wait_alu 0xfffd
	v_add_co_ci_u32_e32 v5, vcc_lo, 0, v5, vcc_lo
	s_delay_alu instid0(VALU_DEP_2) | instskip(SKIP_1) | instid1(VALU_DEP_2)
	v_add_co_u32 v4, vcc_lo, v4, v11
	s_wait_alu 0xfffd
	v_add_co_ci_u32_e32 v4, vcc_lo, v5, v12, vcc_lo
	s_wait_alu 0xfffd
	v_add_co_ci_u32_e32 v5, vcc_lo, 0, v14, vcc_lo
	s_delay_alu instid0(VALU_DEP_2) | instskip(SKIP_1) | instid1(VALU_DEP_2)
	v_add_co_u32 v11, vcc_lo, v4, v13
	s_wait_alu 0xfffd
	v_add_co_ci_u32_e32 v6, vcc_lo, 0, v5, vcc_lo
	s_delay_alu instid0(VALU_DEP_2) | instskip(SKIP_1) | instid1(VALU_DEP_3)
	v_mul_lo_u32 v12, s25, v11
	v_mad_co_u64_u32 v[4:5], null, s24, v11, 0
	v_mul_lo_u32 v13, s24, v6
	s_delay_alu instid0(VALU_DEP_2) | instskip(NEXT) | instid1(VALU_DEP_2)
	v_sub_co_u32 v4, vcc_lo, v9, v4
	v_add3_u32 v5, v5, v13, v12
	s_delay_alu instid0(VALU_DEP_1) | instskip(SKIP_1) | instid1(VALU_DEP_1)
	v_sub_nc_u32_e32 v12, v10, v5
	s_wait_alu 0xfffd
	v_subrev_co_ci_u32_e64 v12, s2, s25, v12, vcc_lo
	v_add_co_u32 v13, s2, v11, 2
	s_wait_alu 0xf1ff
	v_add_co_ci_u32_e64 v14, s2, 0, v6, s2
	v_sub_co_u32 v15, s2, v4, s24
	v_sub_co_ci_u32_e32 v5, vcc_lo, v10, v5, vcc_lo
	s_wait_alu 0xf1ff
	v_subrev_co_ci_u32_e64 v12, s2, 0, v12, s2
	s_delay_alu instid0(VALU_DEP_3) | instskip(NEXT) | instid1(VALU_DEP_3)
	v_cmp_le_u32_e32 vcc_lo, s24, v15
	v_cmp_eq_u32_e64 s2, s25, v5
	s_wait_alu 0xfffd
	v_cndmask_b32_e64 v15, 0, -1, vcc_lo
	v_cmp_le_u32_e32 vcc_lo, s25, v12
	s_wait_alu 0xfffd
	v_cndmask_b32_e64 v16, 0, -1, vcc_lo
	v_cmp_le_u32_e32 vcc_lo, s24, v4
	;; [unrolled: 3-line block ×3, first 2 shown]
	s_wait_alu 0xfffd
	v_cndmask_b32_e64 v17, 0, -1, vcc_lo
	v_cmp_eq_u32_e32 vcc_lo, s25, v12
	s_wait_alu 0xf1ff
	s_delay_alu instid0(VALU_DEP_2)
	v_cndmask_b32_e64 v4, v17, v4, s2
	s_wait_alu 0xfffd
	v_cndmask_b32_e32 v12, v16, v15, vcc_lo
	v_add_co_u32 v15, vcc_lo, v11, 1
	s_wait_alu 0xfffd
	v_add_co_ci_u32_e32 v16, vcc_lo, 0, v6, vcc_lo
	s_delay_alu instid0(VALU_DEP_3) | instskip(SKIP_1) | instid1(VALU_DEP_2)
	v_cmp_ne_u32_e32 vcc_lo, 0, v12
	s_wait_alu 0xfffd
	v_dual_cndmask_b32 v5, v16, v14 :: v_dual_cndmask_b32 v12, v15, v13
	v_cmp_ne_u32_e32 vcc_lo, 0, v4
	s_wait_alu 0xfffd
	s_delay_alu instid0(VALU_DEP_2)
	v_dual_cndmask_b32 v6, v6, v5 :: v_dual_cndmask_b32 v5, v11, v12
.LBB0_4:                                ;   in Loop: Header=BB0_2 Depth=1
	s_wait_alu 0xfffe
	s_and_not1_saveexec_b32 s2, s26
	s_cbranch_execz .LBB0_6
; %bb.5:                                ;   in Loop: Header=BB0_2 Depth=1
	v_cvt_f32_u32_e32 v4, s24
	s_sub_co_i32 s26, 0, s24
	s_delay_alu instid0(VALU_DEP_1) | instskip(NEXT) | instid1(TRANS32_DEP_1)
	v_rcp_iflag_f32_e32 v4, v4
	v_mul_f32_e32 v4, 0x4f7ffffe, v4
	s_delay_alu instid0(VALU_DEP_1) | instskip(SKIP_1) | instid1(VALU_DEP_1)
	v_cvt_u32_f32_e32 v4, v4
	s_wait_alu 0xfffe
	v_mul_lo_u32 v5, s26, v4
	s_delay_alu instid0(VALU_DEP_1) | instskip(NEXT) | instid1(VALU_DEP_1)
	v_mul_hi_u32 v5, v4, v5
	v_add_nc_u32_e32 v4, v4, v5
	s_delay_alu instid0(VALU_DEP_1) | instskip(NEXT) | instid1(VALU_DEP_1)
	v_mul_hi_u32 v4, v9, v4
	v_mul_lo_u32 v5, v4, s24
	v_add_nc_u32_e32 v6, 1, v4
	s_delay_alu instid0(VALU_DEP_2) | instskip(NEXT) | instid1(VALU_DEP_1)
	v_sub_nc_u32_e32 v5, v9, v5
	v_subrev_nc_u32_e32 v11, s24, v5
	v_cmp_le_u32_e32 vcc_lo, s24, v5
	s_wait_alu 0xfffd
	s_delay_alu instid0(VALU_DEP_2) | instskip(NEXT) | instid1(VALU_DEP_1)
	v_dual_cndmask_b32 v5, v5, v11 :: v_dual_cndmask_b32 v4, v4, v6
	v_cmp_le_u32_e32 vcc_lo, s24, v5
	s_delay_alu instid0(VALU_DEP_2) | instskip(SKIP_1) | instid1(VALU_DEP_1)
	v_add_nc_u32_e32 v6, 1, v4
	s_wait_alu 0xfffd
	v_dual_cndmask_b32 v5, v4, v6 :: v_dual_mov_b32 v6, v3
.LBB0_6:                                ;   in Loop: Header=BB0_2 Depth=1
	s_wait_alu 0xfffe
	s_or_b32 exec_lo, exec_lo, s2
	s_delay_alu instid0(VALU_DEP_1) | instskip(NEXT) | instid1(VALU_DEP_2)
	v_mul_lo_u32 v4, v6, s24
	v_mul_lo_u32 v13, v5, s25
	s_load_b64 s[26:27], s[18:19], 0x0
	v_mad_co_u64_u32 v[11:12], null, v5, s24, 0
	s_load_b64 s[24:25], s[16:17], 0x0
	s_add_nc_u64 s[20:21], s[20:21], 1
	s_add_nc_u64 s[16:17], s[16:17], 8
	s_wait_alu 0xfffe
	v_cmp_ge_u64_e64 s2, s[20:21], s[10:11]
	s_add_nc_u64 s[18:19], s[18:19], 8
	s_add_nc_u64 s[22:23], s[22:23], 8
	v_add3_u32 v4, v12, v13, v4
	v_sub_co_u32 v9, vcc_lo, v9, v11
	s_wait_alu 0xfffd
	s_delay_alu instid0(VALU_DEP_2) | instskip(SKIP_2) | instid1(VALU_DEP_1)
	v_sub_co_ci_u32_e32 v4, vcc_lo, v10, v4, vcc_lo
	s_and_b32 vcc_lo, exec_lo, s2
	s_wait_kmcnt 0x0
	v_mul_lo_u32 v10, s26, v4
	v_mul_lo_u32 v11, s27, v9
	v_mad_co_u64_u32 v[7:8], null, s26, v9, v[7:8]
	v_mul_lo_u32 v4, s24, v4
	v_mul_lo_u32 v12, s25, v9
	v_mad_co_u64_u32 v[1:2], null, s24, v9, v[1:2]
	s_delay_alu instid0(VALU_DEP_4) | instskip(NEXT) | instid1(VALU_DEP_2)
	v_add3_u32 v8, v11, v8, v10
	v_add3_u32 v2, v12, v2, v4
	s_wait_alu 0xfffe
	s_cbranch_vccnz .LBB0_9
; %bb.7:                                ;   in Loop: Header=BB0_2 Depth=1
	v_dual_mov_b32 v10, v6 :: v_dual_mov_b32 v9, v5
	s_branch .LBB0_2
.LBB0_8:
	v_dual_mov_b32 v1, v7 :: v_dual_mov_b32 v2, v8
	v_dual_mov_b32 v5, v9 :: v_dual_mov_b32 v6, v10
.LBB0_9:
	s_load_b64 s[0:1], s[0:1], 0x28
	v_mul_hi_u32 v4, 0x2e8ba2f, v0
                                        ; implicit-def: $vgpr3
	s_wait_kmcnt 0x0
	s_delay_alu instid0(VALU_DEP_2) | instskip(SKIP_1) | instid1(VALU_DEP_1)
	v_cmp_gt_u64_e32 vcc_lo, s[0:1], v[5:6]
	v_cmp_le_u64_e64 s0, s[0:1], v[5:6]
	s_and_saveexec_b32 s1, s0
	s_wait_alu 0xfffe
	s_xor_b32 s0, exec_lo, s1
; %bb.10:
	s_delay_alu instid0(VALU_DEP_3) | instskip(NEXT) | instid1(VALU_DEP_1)
	v_mul_u32_u24_e32 v3, 0x58, v4
                                        ; implicit-def: $vgpr4
                                        ; implicit-def: $vgpr7_vgpr8
	v_sub_nc_u32_e32 v3, v0, v3
                                        ; implicit-def: $vgpr0
; %bb.11:
	s_wait_alu 0xfffe
	s_or_saveexec_b32 s1, s0
	s_lshl_b64 s[2:3], s[10:11], 3
	s_wait_alu 0xfffe
	s_xor_b32 exec_lo, exec_lo, s1
	s_cbranch_execz .LBB0_13
; %bb.12:
	s_add_nc_u64 s[10:11], s[12:13], s[2:3]
	v_lshlrev_b64_e32 v[7:8], 2, v[7:8]
	s_load_b64 s[10:11], s[10:11], 0x0
	s_wait_kmcnt 0x0
	v_mul_lo_u32 v3, s11, v5
	v_mul_lo_u32 v11, s10, v6
	v_mad_co_u64_u32 v[9:10], null, s10, v5, 0
	s_delay_alu instid0(VALU_DEP_1) | instskip(SKIP_1) | instid1(VALU_DEP_2)
	v_add3_u32 v10, v10, v11, v3
	v_mul_u32_u24_e32 v3, 0x58, v4
	v_lshlrev_b64_e32 v[9:10], 2, v[9:10]
	s_delay_alu instid0(VALU_DEP_2) | instskip(NEXT) | instid1(VALU_DEP_2)
	v_sub_nc_u32_e32 v3, v0, v3
	v_add_co_u32 v0, s0, s4, v9
	s_wait_alu 0xf1ff
	s_delay_alu instid0(VALU_DEP_3) | instskip(NEXT) | instid1(VALU_DEP_3)
	v_add_co_ci_u32_e64 v4, s0, s5, v10, s0
	v_lshlrev_b32_e32 v9, 2, v3
	s_delay_alu instid0(VALU_DEP_3) | instskip(SKIP_1) | instid1(VALU_DEP_3)
	v_add_co_u32 v0, s0, v0, v7
	s_wait_alu 0xf1ff
	v_add_co_ci_u32_e64 v4, s0, v4, v8, s0
	s_delay_alu instid0(VALU_DEP_2) | instskip(SKIP_1) | instid1(VALU_DEP_2)
	v_add_co_u32 v7, s0, v0, v9
	s_wait_alu 0xf1ff
	v_add_co_ci_u32_e64 v8, s0, 0, v4, s0
	s_clause 0x6
	global_load_b32 v0, v[7:8], off
	global_load_b32 v4, v[7:8], off offset:352
	global_load_b32 v10, v[7:8], off offset:704
	;; [unrolled: 1-line block ×6, first 2 shown]
	v_add_nc_u32_e32 v8, 0, v9
	s_delay_alu instid0(VALU_DEP_1)
	v_add_nc_u32_e32 v9, 0x200, v8
	v_add_nc_u32_e32 v14, 0x400, v8
	s_wait_loadcnt 0x5
	ds_store_2addr_b32 v8, v0, v4 offset1:88
	s_wait_loadcnt 0x3
	ds_store_2addr_b32 v9, v10, v11 offset0:48 offset1:136
	s_wait_loadcnt 0x1
	ds_store_2addr_b32 v14, v12, v13 offset0:96 offset1:184
	s_wait_loadcnt 0x0
	ds_store_b32 v8, v7 offset:2112
.LBB0_13:
	s_or_b32 exec_lo, exec_lo, s1
	v_lshl_add_u32 v0, v3, 2, 0
	global_wb scope:SCOPE_SE
	s_wait_dscnt 0x0
	s_barrier_signal -1
	s_barrier_wait -1
	global_inv scope:SCOPE_SE
	ds_load_2addr_b32 v[9:10], v0 offset1:56
	ds_load_b32 v22, v0 offset:2240
	ds_load_2addr_b32 v[17:18], v0 offset0:112 offset1:168
	v_add_nc_u32_e32 v7, 0x400, v0
	v_add_nc_u32_e32 v19, 0x200, v0
	s_add_nc_u64 s[2:3], s[14:15], s[2:3]
	s_mov_b32 s1, exec_lo
	ds_load_2addr_b32 v[11:12], v7 offset0:192 offset1:248
	ds_load_2addr_b32 v[15:16], v19 offset0:96 offset1:152
	ds_load_2addr_b32 v[13:14], v7 offset0:80 offset1:136
	global_wb scope:SCOPE_SE
	s_wait_dscnt 0x0
	s_barrier_signal -1
	s_barrier_wait -1
	global_inv scope:SCOPE_SE
	v_lshrrev_b32_e32 v31, 16, v9
	v_pk_add_f16 v21, v10, v22 neg_lo:[0,1] neg_hi:[0,1]
	v_pk_add_f16 v27, v22, v10
	v_pk_add_f16 v28, v17, v12 neg_lo:[0,1] neg_hi:[0,1]
	s_delay_alu instid0(VALU_DEP_3)
	v_pk_mul_f16 v4, 0xba0c, v21 op_sel_hi:[0,1]
	v_pk_add_f16 v30, v12, v17
	v_pk_add_f16 v24, v18, v11 neg_lo:[0,1] neg_hi:[0,1]
	v_pk_add_f16 v29, v11, v18
	v_pk_add_f16 v23, v15, v14 neg_lo:[0,1] neg_hi:[0,1]
	v_pk_fma_f16 v37, 0xb93d, v27, v4 op_sel:[0,0,1] op_sel_hi:[0,1,0]
	v_pk_fma_f16 v39, 0xb93d, v27, v4 op_sel:[0,0,1] op_sel_hi:[0,1,0] neg_lo:[0,0,1] neg_hi:[0,0,1]
	v_pk_mul_f16 v4, 0x3beb, v28 op_sel_hi:[0,1]
	v_pk_mul_f16 v8, 0xb853, v24 op_sel_hi:[0,1]
	v_pk_add_f16 v26, v14, v15
	v_pk_add_f16 v20, v16, v13 neg_lo:[0,1] neg_hi:[0,1]
	v_lshrrev_b32_e32 v34, 16, v39
	v_pk_fma_f16 v40, 0xb08e, v30, v4 op_sel:[0,0,1] op_sel_hi:[0,1,0] neg_lo:[0,0,1] neg_hi:[0,0,1]
	v_pk_mul_f16 v32, 0xb482, v23 op_sel_hi:[0,1]
	v_pk_fma_f16 v41, 0xb08e, v30, v4 op_sel:[0,0,1] op_sel_hi:[0,1,0]
	v_pk_fma_f16 v35, 0x3abb, v29, v8 op_sel:[0,0,1] op_sel_hi:[0,1,0] neg_lo:[0,0,1] neg_hi:[0,0,1]
	v_add_f16_e32 v4, v9, v37
	v_add_f16_e32 v36, v31, v34
	v_lshrrev_b32_e32 v42, 16, v40
	v_pk_add_f16 v25, v13, v16
	v_pk_mul_f16 v33, 0x3b47, v20 op_sel_hi:[0,1]
	v_pk_fma_f16 v38, 0x3abb, v29, v8 op_sel:[0,0,1] op_sel_hi:[0,1,0]
	v_pk_fma_f16 v34, 0xbbad, v26, v32 op_sel:[0,0,1] op_sel_hi:[0,1,0] neg_lo:[0,0,1] neg_hi:[0,0,1]
	v_add_f16_e32 v4, v41, v4
	v_lshrrev_b32_e32 v8, 16, v35
	v_add_f16_e32 v42, v42, v36
	v_pk_fma_f16 v36, 0xbbad, v26, v32 op_sel:[0,0,1] op_sel_hi:[0,1,0]
	v_pk_fma_f16 v32, 0x36a6, v25, v33 op_sel:[0,0,1] op_sel_hi:[0,1,0] neg_lo:[0,0,1] neg_hi:[0,0,1]
	v_lshrrev_b32_e32 v43, 16, v34
	v_add_f16_e32 v4, v38, v4
	v_add_f16_e32 v8, v8, v42
	v_pk_fma_f16 v33, 0x36a6, v25, v33 op_sel:[0,0,1] op_sel_hi:[0,1,0]
	v_lshrrev_b32_e32 v42, 16, v32
	s_delay_alu instid0(VALU_DEP_4) | instskip(NEXT) | instid1(VALU_DEP_4)
	v_add_f16_e32 v4, v36, v4
	v_add_f16_e32 v43, v43, v8
	s_delay_alu instid0(VALU_DEP_2) | instskip(NEXT) | instid1(VALU_DEP_2)
	v_add_f16_e32 v8, v33, v4
	v_add_f16_e32 v4, v42, v43
	v_cmpx_gt_u32_e32 56, v3
	s_cbranch_execz .LBB0_15
; %bb.14:
	v_mul_f16_e32 v42, 0xbbeb, v21
	v_lshrrev_b32_e32 v43, 16, v27
	v_bfi_b32 v37, 0xffff, v39, v37
	v_mul_f16_e32 v39, 0x3482, v28
	v_lshrrev_b32_e32 v44, 16, v30
	v_bfi_b32 v40, 0xffff, v40, v41
	v_fmamk_f16 v45, v43, 0xb08e, v42
	v_mul_f16_e32 v41, 0x3b47, v24
	v_lshrrev_b32_e32 v46, 16, v29
	v_fmamk_f16 v47, v44, 0xbbad, v39
	v_bfi_b32 v34, 0xffff, v34, v36
	v_add_f16_e32 v45, v31, v45
	v_lshrrev_b32_e32 v36, 16, v21
	v_fmamk_f16 v49, v46, 0x36a6, v41
	v_bfi_b32 v32, 0xffff, v32, v33
	v_mul_f16_e32 v56, 0xbb47, v21
	v_add_f16_e32 v45, v47, v45
	v_mul_f16_e32 v33, 0xbbeb, v36
	v_lshrrev_b32_e32 v54, 16, v24
	v_mul_f16_e32 v61, 0xba0c, v28
	v_fmamk_f16 v60, v43, 0x36a6, v56
	v_add_f16_e32 v45, v49, v45
	v_lshrrev_b32_e32 v49, 16, v28
	v_fma_f16 v52, v27, 0xb08e, -v33
	v_mul_f16_e32 v58, 0x3b47, v54
	v_lshrrev_b32_e32 v59, 16, v23
	v_add_f16_e32 v60, v31, v60
	v_mul_f16_e32 v53, 0x3482, v49
	v_add_f16_e32 v52, v9, v52
	v_fmamk_f16 v63, v44, 0xb93d, v61
	v_mul_f16_e32 v64, 0x3482, v24
	v_bfi_b32 v35, 0xffff, v35, v38
	v_fma_f16 v57, v30, 0xbbad, -v53
	v_mul_f16_e32 v38, 0xb853, v23
	v_lshrrev_b32_e32 v48, 16, v26
	v_lshrrev_b32_e32 v47, 16, v25
	v_mul_f16_e32 v62, 0xb853, v59
	v_add_f16_e32 v52, v57, v52
	v_fma_f16 v57, v29, 0x36a6, -v58
	v_add_f16_e32 v60, v63, v60
	v_fmamk_f16 v63, v46, 0xbbad, v64
	v_mul_f16_e32 v66, 0x3beb, v23
	v_mul_f16_e32 v36, 0xb853, v36
	v_fmamk_f16 v50, v48, 0x3abb, v38
	v_mul_f16_e32 v51, 0xb93d, v47
	v_add_f16_e32 v52, v57, v52
	v_fma_f16 v57, v26, 0x3abb, -v62
	v_lshrrev_b32_e32 v65, 16, v20
	v_add_f16_e32 v60, v63, v60
	v_fmamk_f16 v63, v48, 0xb08e, v66
	v_mul_f16_e32 v67, 0x3853, v20
	v_fma_f16 v68, v27, 0x3abb, -v36
	v_mul_f16_e32 v49, 0xbb47, v49
	v_add_f16_e32 v45, v50, v45
	v_fmamk_f16 v55, v20, 0xba0c, v51
	v_add_f16_e32 v52, v57, v52
	v_mul_f16_e32 v57, 0xba0c, v65
	v_add_f16_e32 v60, v63, v60
	v_fmamk_f16 v63, v47, 0x3abb, v67
	v_add_f16_e32 v68, v9, v68
	v_fma_f16 v70, v30, 0x36a6, -v49
	v_fma_f16 v42, v43, 0xb08e, -v42
	;; [unrolled: 1-line block ×3, first 2 shown]
	v_add_f16_e32 v45, v55, v45
	v_add_f16_e32 v55, v63, v60
	;; [unrolled: 1-line block ×3, first 2 shown]
	v_pk_mul_f16 v68, 0x3abb36a6, v27
	v_fmac_f16_e32 v33, 0xb08e, v27
	v_add_f16_e32 v42, v31, v42
	v_fma_f16 v43, v43, 0x36a6, -v56
	v_fma_f16 v39, v44, 0xbbad, -v39
	v_add_f16_e32 v52, v69, v52
	v_pk_mul_f16 v69, 0x36a6b93d, v30
	v_add_f16_e32 v33, v9, v33
	v_fmac_f16_e32 v53, 0xbbad, v30
	v_add_f16_e32 v43, v31, v43
	v_fma_f16 v44, v44, 0xb93d, -v61
	v_add_f16_e32 v39, v39, v42
	v_pk_fma_f16 v42, 0xbb47b853, v21, v68 op_sel:[0,0,1] op_sel_hi:[1,1,0]
	v_pk_mul_f16 v70, 0xb08ebbad, v29
	v_add_f16_e32 v33, v53, v33
	v_fmac_f16_e32 v58, 0x36a6, v29
	v_add_f16_e32 v43, v44, v43
	v_fma_f16 v44, v46, 0xbbad, -v64
	v_fma_f16 v41, v46, 0x36a6, -v41
	v_alignbit_b32 v46, s0, v42, 16
	v_pk_fma_f16 v53, 0xba0cbb47, v28, v69 op_sel:[0,0,1] op_sel_hi:[1,1,0]
	v_pk_add_f16 v10, v9, v10
	v_add_f16_e32 v33, v58, v33
	v_add_f16_e32 v43, v44, v43
	v_fma_f16 v44, v48, 0xb08e, -v66
	v_pk_add_f16 v46, v9, v46
	v_alignbit_b32 v56, s0, v53, 16
	v_pk_fma_f16 v58, 0x3482bbeb, v24, v70 op_sel:[0,0,1] op_sel_hi:[1,1,0]
	v_pk_add_f16 v10, v10, v17
	v_add_f16_e32 v43, v44, v43
	v_fma_f16 v44, v47, 0x3abb, -v67
	v_pk_add_f16 v46, v56, v46
	v_alignbit_b32 v47, s0, v58, 16
	v_add_f16_e32 v39, v41, v39
	v_pk_add_f16 v10, v10, v18
	v_add_f16_e32 v41, v44, v43
	v_pk_fma_f16 v17, 0xba0cbb47, v28, v69 op_sel:[0,0,1] op_sel_hi:[1,1,0] neg_lo:[0,1,0] neg_hi:[0,1,0]
	v_pk_add_f16 v43, v47, v46
	v_pk_fma_f16 v46, 0xbb47b853, v21, v68 op_sel:[0,0,1] op_sel_hi:[1,1,0] neg_lo:[0,1,0] neg_hi:[0,1,0]
	v_pk_add_f16 v10, v10, v15
	v_pk_mul_f16 v71, 0xb93db08e, v26
	v_fma_f16 v38, v48, 0x3abb, -v38
	v_pk_fma_f16 v48, 0x3482bbeb, v24, v70 op_sel:[0,0,1] op_sel_hi:[1,1,0] neg_lo:[0,1,0] neg_hi:[0,1,0]
	v_bfi_b32 v15, 0xffff, v42, v46
	v_pk_add_f16 v10, v10, v16
	v_bfi_b32 v16, 0xffff, v53, v17
	v_pk_mul_f16 v72, 0xbbad3abb, v25
	v_pk_fma_f16 v44, 0x3bebba0c, v23, v71 op_sel:[0,0,1] op_sel_hi:[1,1,0]
	v_pk_add_f16 v15, v9, v15 op_sel:[1,0] op_sel_hi:[0,1]
	v_fmac_f16_e32 v36, 0x3abb, v27
	v_pk_fma_f16 v56, 0x3bebba0c, v23, v71 op_sel:[0,0,1] op_sel_hi:[1,1,0] neg_lo:[0,1,0] neg_hi:[0,1,0]
	v_pk_add_f16 v10, v10, v13
	v_add_f16_e32 v18, v31, v46
	v_pk_add_f16 v13, v16, v15
	v_bfi_b32 v15, 0xffff, v58, v48
	v_add_f16_e32 v31, v9, v36
	v_pk_fma_f16 v36, 0x3853b482, v20, v72 op_sel:[0,0,1] op_sel_hi:[1,1,0] neg_lo:[0,1,0] neg_hi:[0,1,0]
	v_pk_add_f16 v10, v10, v14
	v_bfi_b32 v14, 0xffff, v44, v56
	v_pk_add_f16 v13, v15, v13
	v_pk_fma_f16 v15, 0x3853b482, v20, v72 op_sel:[0,0,1] op_sel_hi:[1,1,0]
	v_mul_f16_e32 v54, 0xbbeb, v54
	v_pk_add_f16 v10, v10, v11
	v_alignbit_b32 v47, s0, v9, 16
	v_pk_add_f16 v11, v14, v13
	v_bfi_b32 v13, 0xffff, v15, v36
	v_pk_add_f16 v14, v9, v37
	v_pk_mul_f16 v15, 0xbbad, v27 op_sel_hi:[0,1]
	v_pk_add_f16 v10, v10, v12
	v_fma_f16 v63, v29, 0xb08e, -v54
	v_pk_add_f16 v11, v13, v11
	v_pk_add_f16 v12, v40, v14
	v_pk_fma_f16 v13, 0xb482, v21, v15 op_sel:[0,0,1] op_sel_hi:[0,1,0] neg_lo:[0,1,0] neg_hi:[0,1,0]
	v_pk_mul_f16 v14, 0x3abb, v30 op_sel_hi:[0,1]
	v_pk_fma_f16 v15, 0xb482, v21, v15 op_sel:[0,0,1] op_sel_hi:[0,1,0]
	v_mul_f16_e32 v59, 0xba0c, v59
	v_fmac_f16_e32 v49, 0x36a6, v30
	v_fmac_f16_e32 v54, 0xb08e, v29
	v_pk_add_f16 v27, v47, v13
	v_pk_fma_f16 v30, 0x3853, v28, v14 op_sel:[0,0,1] op_sel_hi:[0,1,0] neg_lo:[0,1,0] neg_hi:[0,1,0]
	v_pk_mul_f16 v29, 0xb93d, v29 op_sel_hi:[0,1]
	v_alignbit_b32 v13, s0, v13, 16
	v_pk_add_f16 v15, v9, v15 op_sel:[1,0] op_sel_hi:[0,1]
	v_pk_fma_f16 v14, 0x3853, v28, v14 op_sel:[0,0,1] op_sel_hi:[0,1,0]
	v_add_f16_e32 v60, v63, v60
	v_fma_f16 v63, v26, 0xb93d, -v59
	v_mul_f16_e32 v65, 0xb482, v65
	v_fmac_f16_e32 v62, 0x3abb, v26
	v_fmac_f16_e32 v59, 0xb93d, v26
	v_pk_add_f16 v21, v30, v27
	v_pk_fma_f16 v27, 0xba0c, v24, v29 op_sel:[0,0,1] op_sel_hi:[0,1,0] neg_lo:[0,1,0] neg_hi:[0,1,0]
	v_pk_mul_f16 v26, 0x36a6, v26 op_sel_hi:[0,1]
	v_pk_add_f16 v9, v9, v13
	v_alignbit_b32 v13, s0, v30, 16
	v_pk_add_f16 v14, v14, v15
	v_pk_fma_f16 v15, 0xba0c, v24, v29 op_sel:[0,0,1] op_sel_hi:[0,1,0]
	v_add_f16_e32 v60, v63, v60
	v_fma_f16 v63, v25, 0xbbad, -v65
	v_fmac_f16_e32 v57, 0xb93d, v25
	v_fmac_f16_e32 v65, 0xbbad, v25
	v_pk_fma_f16 v24, 0x3b47, v23, v26 op_sel:[0,0,1] op_sel_hi:[0,1,0] neg_lo:[0,1,0] neg_hi:[0,1,0]
	v_pk_mul_f16 v25, 0xb08e, v25 op_sel_hi:[0,1]
	v_pk_add_f16 v9, v13, v9
	v_alignbit_b32 v13, s0, v27, 16
	v_mul_f16_e32 v50, 0xba0c, v20
	v_pk_mul_f16 v73, 0x3853b482, v20
	v_pk_add_f16 v21, v27, v21
	v_pk_add_f16 v14, v15, v14
	v_pk_fma_f16 v15, 0x3b47, v23, v26 op_sel:[0,0,1] op_sel_hi:[0,1,0]
	v_lshlrev_b32_e32 v26, 16, v43
	v_add_f16_e32 v18, v17, v18
	v_add_f16_e32 v31, v49, v31
	v_pk_fma_f16 v23, 0xbbeb, v20, v25 op_sel:[0,0,1] op_sel_hi:[0,1,0] neg_lo:[0,1,0] neg_hi:[0,1,0]
	v_pk_add_f16 v9, v13, v9
	v_alignbit_b32 v13, s0, v24, 16
	v_pk_add_f16 v21, v24, v21
	v_pk_add_f16 v14, v15, v14
	v_pk_add_f16 v15, v51, v50 neg_lo:[0,1] neg_hi:[0,1]
	v_pk_add_f16 v24, v44, v26
	v_pack_b32_f16 v26, v38, v72
	v_bfi_b32 v27, 0xffff, v39, v73
	v_add_f16_e32 v17, v48, v18
	v_add_f16_e32 v18, v54, v31
	v_pk_add_f16 v12, v35, v12
	v_pk_fma_f16 v20, 0xbbeb, v20, v25 op_sel:[0,0,1] op_sel_hi:[0,1,0]
	v_pk_add_f16 v9, v13, v9
	v_alignbit_b32 v13, s0, v23, 16
	v_add_f16_e32 v33, v62, v33
	v_bfi_b32 v15, 0xffff, v15, v24
	v_pk_add_f16 v24, v26, v27
	v_add_f16_e32 v16, v56, v17
	v_add_f16_e32 v17, v59, v18
	;; [unrolled: 1-line block ×3, first 2 shown]
	v_pk_add_f16 v12, v34, v12
	v_pk_add_f16 v21, v23, v21
	;; [unrolled: 1-line block ×4, first 2 shown]
	v_add_f16_e32 v33, v57, v33
	v_mad_u32_u24 v18, v3, 40, v0
	v_pk_add_f16 v10, v10, v22
	v_perm_b32 v13, v4, v8, 0x5040100
	v_pk_add_f16 v15, v15, v24
	v_add_f16_e32 v16, v36, v16
	v_add_f16_e32 v17, v65, v17
	v_alignbit_b32 v22, v55, v11, 16
	v_pack_b32_f16 v11, v60, v11
	v_pk_add_f16 v12, v32, v12
	v_pack_b32_f16 v20, v52, v45
	v_alignbit_b32 v21, v21, v14, 16
	v_pack_b32_f16 v9, v9, v14
	ds_store_2addr_b32 v18, v10, v13 offset1:7
	v_alignbit_b32 v10, v41, v15, 16
	v_pack_b32_f16 v13, v33, v15
	v_pack_b32_f16 v14, v17, v16
	ds_store_2addr_b32 v18, v11, v22 offset0:1 offset1:2
	ds_store_2addr_b32 v18, v20, v12 offset0:3 offset1:4
	;; [unrolled: 1-line block ×4, first 2 shown]
	ds_store_b32 v18, v14 offset:40
.LBB0_15:
	s_wait_alu 0xfffe
	s_or_b32 exec_lo, exec_lo, s1
	v_and_b32_e32 v9, 0xff, v3
	s_load_b64 s[2:3], s[2:3], 0x0
	global_wb scope:SCOPE_SE
	s_wait_dscnt 0x0
	s_wait_kmcnt 0x0
	s_barrier_signal -1
	s_barrier_wait -1
	v_mul_lo_u16 v9, 0x75, v9
	global_inv scope:SCOPE_SE
	v_cmp_gt_u32_e64 s0, 0x4d, v3
	v_lshrrev_b16 v9, 8, v9
	s_delay_alu instid0(VALU_DEP_1) | instskip(NEXT) | instid1(VALU_DEP_1)
	v_sub_nc_u16 v10, v3, v9
	v_lshrrev_b16 v10, 1, v10
	s_delay_alu instid0(VALU_DEP_1) | instskip(NEXT) | instid1(VALU_DEP_1)
	v_and_b32_e32 v10, 0x7f, v10
	v_add_nc_u16 v9, v10, v9
	s_delay_alu instid0(VALU_DEP_1) | instskip(NEXT) | instid1(VALU_DEP_1)
	v_lshrrev_b16 v21, 3, v9
	v_mul_lo_u16 v9, v21, 11
	v_and_b32_e32 v21, 0xffff, v21
	s_delay_alu instid0(VALU_DEP_2) | instskip(NEXT) | instid1(VALU_DEP_2)
	v_sub_nc_u16 v9, v3, v9
	v_mul_u32_u24_e32 v21, 0x134, v21
	s_delay_alu instid0(VALU_DEP_2) | instskip(NEXT) | instid1(VALU_DEP_1)
	v_and_b32_e32 v22, 0xff, v9
	v_mul_u32_u24_e32 v9, 6, v22
	v_lshlrev_b32_e32 v22, 2, v22
	s_delay_alu instid0(VALU_DEP_2) | instskip(NEXT) | instid1(VALU_DEP_2)
	v_lshlrev_b32_e32 v13, 2, v9
	v_add3_u32 v22, 0, v21, v22
	s_clause 0x1
	global_load_b128 v[9:12], v13, s[8:9]
	global_load_b64 v[13:14], v13, s[8:9] offset:16
	ds_load_2addr_b32 v[15:16], v0 offset1:88
	ds_load_2addr_b32 v[17:18], v19 offset0:48 offset1:136
	ds_load_2addr_b32 v[19:20], v7 offset0:96 offset1:184
	ds_load_b32 v7, v0 offset:2112
	global_wb scope:SCOPE_SE
	s_wait_loadcnt_dscnt 0x0
	s_barrier_signal -1
	s_barrier_wait -1
	global_inv scope:SCOPE_SE
	v_lshrrev_b32_e32 v23, 16, v16
	v_lshrrev_b32_e32 v24, 16, v17
	v_lshrrev_b32_e32 v25, 16, v18
	v_lshrrev_b32_e32 v26, 16, v19
	v_lshrrev_b32_e32 v27, 16, v20
	v_lshrrev_b32_e32 v28, 16, v7
	v_lshrrev_b32_e32 v29, 16, v15
	v_lshrrev_b32_e32 v21, 16, v9
	v_lshrrev_b32_e32 v30, 16, v10
	v_lshrrev_b32_e32 v31, 16, v11
	v_lshrrev_b32_e32 v32, 16, v12
	v_lshrrev_b32_e32 v33, 16, v13
	v_lshrrev_b32_e32 v34, 16, v14
	v_mul_f16_e32 v35, v21, v23
	v_mul_f16_e32 v21, v21, v16
	;; [unrolled: 1-line block ×12, first 2 shown]
	v_fma_f16 v16, v9, v16, -v35
	v_fmac_f16_e32 v21, v9, v23
	v_fma_f16 v9, v10, v17, -v36
	v_fmac_f16_e32 v30, v10, v24
	;; [unrolled: 2-line block ×3, first 2 shown]
	v_fma_f16 v11, v12, v19, -v38
	v_fma_f16 v7, v14, v7, -v40
	v_fmac_f16_e32 v34, v14, v28
	v_fmac_f16_e32 v32, v12, v26
	v_fma_f16 v12, v13, v20, -v39
	v_fmac_f16_e32 v33, v13, v27
	v_add_f16_e32 v13, v16, v7
	v_add_f16_e32 v14, v21, v34
	v_sub_f16_e32 v7, v16, v7
	v_add_f16_e32 v17, v9, v12
	v_add_f16_e32 v18, v30, v33
	v_sub_f16_e32 v16, v21, v34
	v_sub_f16_e32 v9, v9, v12
	;; [unrolled: 1-line block ×3, first 2 shown]
	v_add_f16_e32 v19, v10, v11
	v_add_f16_e32 v20, v31, v32
	v_sub_f16_e32 v10, v11, v10
	v_sub_f16_e32 v11, v32, v31
	v_add_f16_e32 v21, v17, v13
	v_add_f16_e32 v23, v18, v14
	v_sub_f16_e32 v24, v17, v13
	v_sub_f16_e32 v25, v18, v14
	;; [unrolled: 1-line block ×6, first 2 shown]
	v_add_f16_e32 v26, v10, v9
	v_add_f16_e32 v27, v11, v12
	v_sub_f16_e32 v28, v10, v9
	v_sub_f16_e32 v30, v11, v12
	;; [unrolled: 1-line block ×4, first 2 shown]
	v_add_f16_e32 v19, v19, v21
	v_add_f16_e32 v20, v20, v23
	v_sub_f16_e32 v10, v7, v10
	v_sub_f16_e32 v11, v16, v11
	v_add_f16_e32 v7, v26, v7
	v_add_f16_e32 v16, v27, v16
	v_mul_f16_e32 v13, 0x3a52, v13
	v_mul_f16_e32 v14, 0x3a52, v14
	;; [unrolled: 1-line block ×8, first 2 shown]
	v_add_f16_e32 v9, v19, v15
	v_add_f16_e32 v15, v20, v29
	v_fmamk_f16 v17, v17, 0x2b26, v13
	v_fmamk_f16 v18, v18, 0x2b26, v14
	v_fma_f16 v21, v24, 0x39e0, -v21
	v_fma_f16 v23, v25, 0x39e0, -v23
	;; [unrolled: 1-line block ×4, first 2 shown]
	v_fmamk_f16 v24, v10, 0x3574, v26
	v_fmamk_f16 v25, v11, 0x3574, v27
	v_fma_f16 v26, v31, 0x3b00, -v26
	v_fma_f16 v28, v10, 0xb574, -v28
	;; [unrolled: 1-line block ×3, first 2 shown]
	v_fmamk_f16 v10, v19, 0xbcab, v9
	v_fmamk_f16 v11, v20, 0xbcab, v15
	v_fma_f16 v27, v12, 0x3b00, -v27
	v_fmac_f16_e32 v24, 0x370e, v7
	v_fmac_f16_e32 v25, 0x370e, v16
	;; [unrolled: 1-line block ×4, first 2 shown]
	v_add_f16_e32 v7, v17, v10
	v_add_f16_e32 v31, v18, v11
	v_fmac_f16_e32 v27, 0x370e, v16
	v_fmac_f16_e32 v29, 0x370e, v16
	v_add_f16_e32 v17, v21, v10
	v_add_f16_e32 v20, v13, v10
	;; [unrolled: 1-line block ×5, first 2 shown]
	v_sub_f16_e32 v16, v31, v24
	v_add_f16_e32 v11, v29, v20
	v_sub_f16_e32 v18, v21, v28
	v_sub_f16_e32 v12, v17, v27
	v_add_f16_e32 v19, v26, v14
	v_add_f16_e32 v13, v27, v17
	v_sub_f16_e32 v17, v14, v26
	v_sub_f16_e32 v14, v20, v29
	v_add_f16_e32 v20, v28, v21
	v_sub_f16_e32 v7, v7, v25
	v_add_f16_e32 v21, v24, v31
	v_pack_b32_f16 v30, v9, v15
	v_pack_b32_f16 v23, v10, v16
	;; [unrolled: 1-line block ×7, first 2 shown]
	ds_store_2addr_b32 v22, v30, v23 offset1:11
	ds_store_2addr_b32 v22, v24, v25 offset0:22 offset1:33
	ds_store_2addr_b32 v22, v26, v27 offset0:44 offset1:55
	ds_store_b32 v22, v28 offset:264
	global_wb scope:SCOPE_SE
	s_wait_dscnt 0x0
	s_barrier_signal -1
	s_barrier_wait -1
	global_inv scope:SCOPE_SE
	s_and_saveexec_b32 s1, s0
	s_cbranch_execz .LBB0_17
; %bb.16:
	v_add_nc_u32_e32 v4, 0x400, v0
	v_add_nc_u32_e32 v7, 0x600, v0
	ds_load_2addr_b32 v[9:10], v0 offset1:77
	ds_load_2addr_b32 v[11:12], v0 offset0:154 offset1:231
	ds_load_2addr_b32 v[13:14], v4 offset0:52 offset1:129
	;; [unrolled: 1-line block ×3, first 2 shown]
	s_wait_dscnt 0x3
	v_lshrrev_b32_e32 v15, 16, v9
	v_lshrrev_b32_e32 v16, 16, v10
	s_wait_dscnt 0x2
	v_lshrrev_b32_e32 v18, 16, v11
	v_lshrrev_b32_e32 v19, 16, v12
	;; [unrolled: 3-line block ×4, first 2 shown]
.LBB0_17:
	s_wait_alu 0xfffe
	s_or_b32 exec_lo, exec_lo, s1
	global_wb scope:SCOPE_SE
	s_barrier_signal -1
	s_barrier_wait -1
	global_inv scope:SCOPE_SE
	s_and_saveexec_b32 s1, s0
	s_cbranch_execz .LBB0_19
; %bb.18:
	v_dual_mov_b32 v23, 0 :: v_dual_add_nc_u32 v22, 0xffffffb3, v3
	v_add_nc_u32_e32 v29, 0x400, v0
	s_delay_alu instid0(VALU_DEP_2) | instskip(NEXT) | instid1(VALU_DEP_1)
	v_cndmask_b32_e64 v22, v22, v3, s0
	v_mul_i32_i24_e32 v22, 7, v22
	s_delay_alu instid0(VALU_DEP_1) | instskip(NEXT) | instid1(VALU_DEP_1)
	v_lshlrev_b64_e32 v[22:23], 2, v[22:23]
	v_add_co_u32 v26, s0, s8, v22
	s_wait_alu 0xf1ff
	s_delay_alu instid0(VALU_DEP_2)
	v_add_co_ci_u32_e64 v27, s0, s9, v23, s0
	s_clause 0x1
	global_load_b128 v[22:25], v[26:27], off offset:264
	global_load_b96 v[26:28], v[26:27], off offset:280
	s_wait_loadcnt 0x1
	v_lshrrev_b32_e32 v30, 16, v22
	v_lshrrev_b32_e32 v31, 16, v23
	;; [unrolled: 1-line block ×4, first 2 shown]
	s_wait_loadcnt 0x0
	v_lshrrev_b32_e32 v34, 16, v27
	v_lshrrev_b32_e32 v35, 16, v26
	;; [unrolled: 1-line block ×3, first 2 shown]
	v_mul_f16_e32 v37, v17, v32
	v_mul_f16_e32 v38, v11, v31
	;; [unrolled: 1-line block ×14, first 2 shown]
	v_fma_f16 v13, v13, v25, -v37
	v_fmac_f16_e32 v38, v18, v23
	v_fmac_f16_e32 v39, v21, v27
	v_fma_f16 v10, v10, v22, -v40
	v_fma_f16 v14, v14, v26, -v41
	v_fmac_f16_e32 v42, v19, v24
	v_fmac_f16_e32 v43, v4, v28
	;; [unrolled: 1-line block ×4, first 2 shown]
	v_fma_f16 v4, v12, v24, -v33
	v_fma_f16 v8, v8, v28, -v36
	v_fmac_f16_e32 v32, v17, v25
	v_fma_f16 v11, v11, v23, -v31
	v_fma_f16 v7, v7, v27, -v34
	v_sub_f16_e32 v12, v9, v13
	v_sub_f16_e32 v13, v38, v39
	;; [unrolled: 1-line block ×10, first 2 shown]
	v_add_f16_e32 v22, v17, v8
	v_fma_f16 v9, v9, 2.0, -v12
	v_add_f16_e32 v23, v18, v7
	v_fma_f16 v7, v11, 2.0, -v7
	v_fma_f16 v11, v30, 2.0, -v17
	;; [unrolled: 1-line block ×7, first 2 shown]
	v_fmamk_f16 v8, v21, 0x39a8, v20
	v_sub_f16_e32 v7, v9, v7
	v_sub_f16_e32 v16, v11, v16
	v_sub_f16_e32 v13, v15, v13
	v_sub_f16_e32 v4, v10, v4
	v_fma_f16 v12, v12, 2.0, -v20
	v_fma_f16 v14, v14, 2.0, -v21
	;; [unrolled: 1-line block ×4, first 2 shown]
	v_fmamk_f16 v24, v22, 0x39a8, v23
	v_fmac_f16_e32 v8, 0xb9a8, v22
	v_add_f16_e32 v22, v13, v4
	v_fmamk_f16 v25, v14, 0xb9a8, v12
	v_fmamk_f16 v26, v17, 0xb9a8, v18
	v_fma_f16 v9, v9, 2.0, -v7
	v_fma_f16 v4, v10, 2.0, -v4
	;; [unrolled: 1-line block ×4, first 2 shown]
	v_fmac_f16_e32 v24, 0x39a8, v21
	v_sub_f16_e32 v21, v7, v16
	v_fmac_f16_e32 v25, 0xb9a8, v17
	v_fmac_f16_e32 v26, 0x39a8, v14
	v_sub_f16_e32 v4, v9, v4
	v_sub_f16_e32 v11, v10, v11
	v_fma_f16 v15, v20, 2.0, -v8
	v_fma_f16 v16, v23, 2.0, -v24
	;; [unrolled: 1-line block ×8, first 2 shown]
	v_pack_b32_f16 v7, v7, v13
	v_pack_b32_f16 v13, v15, v16
	;; [unrolled: 1-line block ×6, first 2 shown]
	v_add_nc_u32_e32 v19, 0x600, v0
	v_pack_b32_f16 v14, v21, v22
	v_pack_b32_f16 v8, v8, v24
	ds_store_2addr_b32 v0, v7, v13 offset0:154 offset1:231
	ds_store_2addr_b32 v29, v4, v11 offset0:52 offset1:129
	ds_store_2addr_b32 v0, v9, v10 offset1:77
	ds_store_2addr_b32 v19, v14, v8 offset0:78 offset1:155
.LBB0_19:
	s_wait_alu 0xfffe
	s_or_b32 exec_lo, exec_lo, s1
	global_wb scope:SCOPE_SE
	s_wait_dscnt 0x0
	s_barrier_signal -1
	s_barrier_wait -1
	global_inv scope:SCOPE_SE
	ds_load_b32 v12, v0
	v_lshlrev_b32_e32 v4, 2, v3
	s_mov_b32 s1, exec_lo
                                        ; implicit-def: $vgpr11
                                        ; implicit-def: $vgpr10
                                        ; implicit-def: $vgpr7_vgpr8
	s_delay_alu instid0(VALU_DEP_1)
	v_sub_nc_u32_e32 v9, 0, v4
	s_wait_dscnt 0x0
	v_lshrrev_b32_e32 v13, 16, v12
	v_cmpx_ne_u32_e32 0, v3
	s_wait_alu 0xfffe
	s_xor_b32 s1, exec_lo, s1
	s_cbranch_execz .LBB0_21
; %bb.20:
	v_mov_b32_e32 v4, 0
	s_delay_alu instid0(VALU_DEP_1) | instskip(NEXT) | instid1(VALU_DEP_1)
	v_lshlrev_b64_e32 v[7:8], 2, v[3:4]
	v_add_co_u32 v7, s0, s8, v7
	s_wait_alu 0xf1ff
	s_delay_alu instid0(VALU_DEP_2)
	v_add_co_ci_u32_e64 v8, s0, s9, v8, s0
	global_load_b32 v7, v[7:8], off offset:2420
	ds_load_b32 v8, v9 offset:2464
	s_wait_dscnt 0x0
	v_lshrrev_b32_e32 v10, 16, v8
	v_sub_f16_e32 v11, v12, v8
	v_add_f16_e32 v8, v8, v12
	s_delay_alu instid0(VALU_DEP_3) | instskip(SKIP_1) | instid1(VALU_DEP_4)
	v_add_f16_e32 v14, v10, v13
	v_sub_f16_e32 v10, v13, v10
	v_mul_f16_e32 v11, 0.5, v11
	s_delay_alu instid0(VALU_DEP_3) | instskip(NEXT) | instid1(VALU_DEP_3)
	v_mul_f16_e32 v14, 0.5, v14
	v_mul_f16_e32 v10, 0.5, v10
	s_wait_loadcnt 0x0
	v_lshrrev_b32_e32 v13, 16, v7
	s_delay_alu instid0(VALU_DEP_1) | instskip(NEXT) | instid1(VALU_DEP_3)
	v_mul_f16_e32 v12, v13, v11
	v_fma_f16 v15, v14, v13, v10
	v_fma_f16 v13, v14, v13, -v10
	s_delay_alu instid0(VALU_DEP_3) | instskip(SKIP_1) | instid1(VALU_DEP_4)
	v_fma_f16 v10, 0.5, v8, v12
	v_fma_f16 v8, v8, 0.5, -v12
	v_fma_f16 v12, -v7, v11, v15
	s_delay_alu instid0(VALU_DEP_4)
	v_fma_f16 v13, -v7, v11, v13
	ds_store_b16 v0, v12 offset:2
	ds_store_b16 v9, v13 offset:2466
	v_fmac_f16_e32 v10, v7, v14
	v_fma_f16 v11, -v7, v14, v8
	v_dual_mov_b32 v8, v4 :: v_dual_mov_b32 v7, v3
                                        ; implicit-def: $vgpr13
                                        ; implicit-def: $vgpr12
.LBB0_21:
	s_wait_alu 0xfffe
	s_and_not1_saveexec_b32 s0, s1
	s_cbranch_execz .LBB0_23
; %bb.22:
	v_mov_b32_e32 v4, 0
	v_add_f16_e32 v10, v13, v12
	v_sub_f16_e32 v11, v12, v13
	ds_store_b16 v0, v4 offset:2
	ds_store_b16 v9, v4 offset:2466
	ds_load_u16 v7, v4 offset:1234
	s_wait_dscnt 0x0
	v_xor_b32_e32 v14, 0x8000, v7
	v_mov_b32_e32 v7, 0
	v_mov_b32_e32 v8, 0
	ds_store_b16 v4, v14 offset:1234
.LBB0_23:
	s_wait_alu 0xfffe
	s_or_b32 exec_lo, exec_lo, s0
	v_lshlrev_b64_e32 v[7:8], 2, v[7:8]
	s_add_nc_u64 s[0:1], s[8:9], 0x974
	s_wait_alu 0xfffe
	s_delay_alu instid0(VALU_DEP_1) | instskip(SKIP_1) | instid1(VALU_DEP_2)
	v_add_co_u32 v7, s0, s0, v7
	s_wait_alu 0xf1ff
	v_add_co_ci_u32_e64 v8, s0, s1, v8, s0
	s_mov_b32 s1, exec_lo
	s_clause 0x1
	global_load_b32 v4, v[7:8], off offset:352
	global_load_b32 v12, v[7:8], off offset:704
	ds_store_b16 v0, v10
	ds_store_b16 v9, v11 offset:2464
	ds_load_b32 v10, v0 offset:352
	ds_load_b32 v11, v9 offset:2112
	s_wait_dscnt 0x0
	v_pk_add_f16 v13, v10, v11 neg_lo:[0,1] neg_hi:[0,1]
	v_pk_add_f16 v10, v10, v11
	s_delay_alu instid0(VALU_DEP_1) | instskip(SKIP_1) | instid1(VALU_DEP_2)
	v_bfi_b32 v11, 0xffff, v13, v10
	v_bfi_b32 v10, 0xffff, v10, v13
	v_pk_mul_f16 v11, v11, 0.5 op_sel_hi:[1,0]
	s_delay_alu instid0(VALU_DEP_2) | instskip(SKIP_1) | instid1(VALU_DEP_1)
	v_pk_mul_f16 v10, v10, 0.5 op_sel_hi:[1,0]
	s_wait_loadcnt 0x1
	v_pk_fma_f16 v13, v4, v11, v10 op_sel:[1,0,0]
	v_pk_mul_f16 v14, v4, v11 op_sel_hi:[0,1]
	v_pk_fma_f16 v15, v4, v11, v10 op_sel:[1,0,0] neg_lo:[1,0,0] neg_hi:[1,0,0]
	v_pk_fma_f16 v4, v4, v11, v10 op_sel:[1,0,0] neg_lo:[0,0,1] neg_hi:[0,0,1]
	s_delay_alu instid0(VALU_DEP_3) | instskip(SKIP_1) | instid1(VALU_DEP_4)
	v_pk_add_f16 v10, v13, v14 op_sel:[0,1] op_sel_hi:[1,0]
	v_pk_add_f16 v11, v13, v14 op_sel:[0,1] op_sel_hi:[1,0] neg_lo:[0,1] neg_hi:[0,1]
	v_pk_add_f16 v13, v15, v14 op_sel:[0,1] op_sel_hi:[1,0] neg_lo:[0,1] neg_hi:[0,1]
	s_delay_alu instid0(VALU_DEP_4) | instskip(NEXT) | instid1(VALU_DEP_3)
	v_pk_add_f16 v4, v4, v14 op_sel:[0,1] op_sel_hi:[1,0] neg_lo:[0,1] neg_hi:[0,1]
	v_bfi_b32 v10, 0xffff, v10, v11
	s_delay_alu instid0(VALU_DEP_2)
	v_bfi_b32 v4, 0xffff, v13, v4
	ds_store_b32 v0, v10 offset:352
	ds_store_b32 v9, v4 offset:2112
	ds_load_b32 v4, v0 offset:704
	ds_load_b32 v10, v9 offset:1760
	s_wait_dscnt 0x0
	v_pk_add_f16 v11, v4, v10 neg_lo:[0,1] neg_hi:[0,1]
	v_pk_add_f16 v4, v4, v10
	s_delay_alu instid0(VALU_DEP_1) | instskip(SKIP_1) | instid1(VALU_DEP_2)
	v_bfi_b32 v10, 0xffff, v11, v4
	v_bfi_b32 v4, 0xffff, v4, v11
	v_pk_mul_f16 v10, v10, 0.5 op_sel_hi:[1,0]
	s_delay_alu instid0(VALU_DEP_2) | instskip(SKIP_1) | instid1(VALU_DEP_2)
	v_pk_mul_f16 v4, v4, 0.5 op_sel_hi:[1,0]
	s_wait_loadcnt 0x0
	v_pk_mul_f16 v13, v12, v10 op_sel_hi:[0,1]
	s_delay_alu instid0(VALU_DEP_2) | instskip(SKIP_2) | instid1(VALU_DEP_3)
	v_pk_fma_f16 v11, v12, v10, v4 op_sel:[1,0,0]
	v_pk_fma_f16 v14, v12, v10, v4 op_sel:[1,0,0] neg_lo:[1,0,0] neg_hi:[1,0,0]
	v_pk_fma_f16 v4, v12, v10, v4 op_sel:[1,0,0] neg_lo:[0,0,1] neg_hi:[0,0,1]
	v_pk_add_f16 v10, v11, v13 op_sel:[0,1] op_sel_hi:[1,0]
	v_pk_add_f16 v11, v11, v13 op_sel:[0,1] op_sel_hi:[1,0] neg_lo:[0,1] neg_hi:[0,1]
	s_delay_alu instid0(VALU_DEP_4) | instskip(NEXT) | instid1(VALU_DEP_4)
	v_pk_add_f16 v12, v14, v13 op_sel:[0,1] op_sel_hi:[1,0] neg_lo:[0,1] neg_hi:[0,1]
	v_pk_add_f16 v4, v4, v13 op_sel:[0,1] op_sel_hi:[1,0] neg_lo:[0,1] neg_hi:[0,1]
	s_delay_alu instid0(VALU_DEP_3) | instskip(NEXT) | instid1(VALU_DEP_2)
	v_bfi_b32 v10, 0xffff, v10, v11
	v_bfi_b32 v4, 0xffff, v12, v4
	ds_store_b32 v0, v10 offset:704
	ds_store_b32 v9, v4 offset:1760
	v_cmpx_gt_u32_e32 44, v3
	s_cbranch_execz .LBB0_25
; %bb.24:
	global_load_b32 v4, v[7:8], off offset:1056
	ds_load_b32 v7, v0 offset:1056
	ds_load_b32 v8, v9 offset:1408
	s_wait_dscnt 0x0
	v_pk_add_f16 v10, v7, v8 neg_lo:[0,1] neg_hi:[0,1]
	v_pk_add_f16 v7, v7, v8
	s_delay_alu instid0(VALU_DEP_1) | instskip(SKIP_1) | instid1(VALU_DEP_2)
	v_bfi_b32 v8, 0xffff, v10, v7
	v_bfi_b32 v7, 0xffff, v7, v10
	v_pk_mul_f16 v8, v8, 0.5 op_sel_hi:[1,0]
	s_delay_alu instid0(VALU_DEP_2) | instskip(SKIP_1) | instid1(VALU_DEP_1)
	v_pk_mul_f16 v7, v7, 0.5 op_sel_hi:[1,0]
	s_wait_loadcnt 0x0
	v_pk_fma_f16 v10, v4, v8, v7 op_sel:[1,0,0]
	v_pk_mul_f16 v11, v4, v8 op_sel_hi:[0,1]
	v_pk_fma_f16 v12, v4, v8, v7 op_sel:[1,0,0] neg_lo:[1,0,0] neg_hi:[1,0,0]
	v_pk_fma_f16 v4, v4, v8, v7 op_sel:[1,0,0] neg_lo:[0,0,1] neg_hi:[0,0,1]
	s_delay_alu instid0(VALU_DEP_3) | instskip(SKIP_1) | instid1(VALU_DEP_4)
	v_pk_add_f16 v7, v10, v11 op_sel:[0,1] op_sel_hi:[1,0]
	v_pk_add_f16 v8, v10, v11 op_sel:[0,1] op_sel_hi:[1,0] neg_lo:[0,1] neg_hi:[0,1]
	v_pk_add_f16 v10, v12, v11 op_sel:[0,1] op_sel_hi:[1,0] neg_lo:[0,1] neg_hi:[0,1]
	s_delay_alu instid0(VALU_DEP_4) | instskip(NEXT) | instid1(VALU_DEP_3)
	v_pk_add_f16 v4, v4, v11 op_sel:[0,1] op_sel_hi:[1,0] neg_lo:[0,1] neg_hi:[0,1]
	v_bfi_b32 v7, 0xffff, v7, v8
	s_delay_alu instid0(VALU_DEP_2)
	v_bfi_b32 v4, 0xffff, v10, v4
	ds_store_b32 v0, v7 offset:1056
	ds_store_b32 v9, v4 offset:1408
.LBB0_25:
	s_wait_alu 0xfffe
	s_or_b32 exec_lo, exec_lo, s1
	global_wb scope:SCOPE_SE
	s_wait_dscnt 0x0
	s_barrier_signal -1
	s_barrier_wait -1
	global_inv scope:SCOPE_SE
	s_and_saveexec_b32 s0, vcc_lo
	s_cbranch_execz .LBB0_28
; %bb.26:
	v_mul_lo_u32 v0, s3, v5
	v_mul_lo_u32 v7, s2, v6
	v_mad_co_u64_u32 v[5:6], null, s2, v5, 0
	v_mov_b32_e32 v4, 0
	v_lshl_add_u32 v25, v3, 2, 0
	v_add_nc_u32_e32 v19, 0x1b8, v3
	v_add_nc_u32_e32 v23, 0x210, v3
	;; [unrolled: 1-line block ×3, first 2 shown]
	v_add3_u32 v6, v6, v7, v0
	v_add_nc_u32_e32 v7, 0x58, v3
	v_lshlrev_b64_e32 v[0:1], 2, v[1:2]
	v_dual_mov_b32 v8, v4 :: v_dual_add_nc_u32 v9, 0xb0, v3
	s_delay_alu instid0(VALU_DEP_4)
	v_lshlrev_b64_e32 v[5:6], 2, v[5:6]
	v_lshlrev_b64_e32 v[13:14], 2, v[3:4]
	v_mov_b32_e32 v10, v4
	v_add_nc_u32_e32 v2, 0x200, v25
	v_mov_b32_e32 v18, v4
	v_mov_b32_e32 v20, v4
	v_add_co_u32 v15, vcc_lo, s6, v5
	s_wait_alu 0xfffd
	v_add_co_ci_u32_e32 v16, vcc_lo, s7, v6, vcc_lo
	v_lshlrev_b64_e32 v[5:6], 2, v[7:8]
	s_delay_alu instid0(VALU_DEP_3) | instskip(SKIP_1) | instid1(VALU_DEP_3)
	v_add_co_u32 v0, vcc_lo, v15, v0
	s_wait_alu 0xfffd
	v_add_co_ci_u32_e32 v1, vcc_lo, v16, v1, vcc_lo
	v_dual_mov_b32 v16, v4 :: v_dual_add_nc_u32 v15, 0x108, v3
	v_lshlrev_b64_e32 v[7:8], 2, v[9:10]
	v_add_co_u32 v9, vcc_lo, v0, v13
	s_wait_alu 0xfffd
	v_add_co_ci_u32_e32 v10, vcc_lo, v1, v14, vcc_lo
	v_add_co_u32 v5, vcc_lo, v0, v5
	v_lshlrev_b64_e32 v[15:16], 2, v[15:16]
	s_wait_alu 0xfffd
	v_add_co_ci_u32_e32 v6, vcc_lo, v1, v6, vcc_lo
	ds_load_2addr_b32 v[13:14], v2 offset0:48 offset1:136
	v_add_nc_u32_e32 v2, 0x400, v25
	ds_load_2addr_b32 v[11:12], v25 offset1:88
	v_add_co_u32 v7, vcc_lo, v0, v7
	v_lshlrev_b64_e32 v[17:18], 2, v[17:18]
	v_mov_b32_e32 v24, v4
	s_wait_alu 0xfffd
	v_add_co_ci_u32_e32 v8, vcc_lo, v1, v8, vcc_lo
	v_add_co_u32 v15, vcc_lo, v0, v15
	v_lshlrev_b64_e32 v[19:20], 2, v[19:20]
	ds_load_2addr_b32 v[21:22], v2 offset0:96 offset1:184
	s_wait_alu 0xfffd
	v_add_co_ci_u32_e32 v16, vcc_lo, v1, v16, vcc_lo
	ds_load_b32 v2, v25 offset:2112
	v_add_co_u32 v17, vcc_lo, v0, v17
	v_lshlrev_b64_e32 v[23:24], 2, v[23:24]
	s_wait_alu 0xfffd
	v_add_co_ci_u32_e32 v18, vcc_lo, v1, v18, vcc_lo
	v_add_co_u32 v19, vcc_lo, v0, v19
	s_wait_alu 0xfffd
	v_add_co_ci_u32_e32 v20, vcc_lo, v1, v20, vcc_lo
	v_add_co_u32 v23, vcc_lo, v0, v23
	s_wait_alu 0xfffd
	v_add_co_ci_u32_e32 v24, vcc_lo, v1, v24, vcc_lo
	v_cmp_eq_u32_e32 vcc_lo, 0x57, v3
	s_wait_dscnt 0x2
	s_clause 0x3
	global_store_b32 v[9:10], v11, off
	global_store_b32 v[5:6], v12, off
	;; [unrolled: 1-line block ×4, first 2 shown]
	s_wait_dscnt 0x1
	s_clause 0x1
	global_store_b32 v[17:18], v21, off
	global_store_b32 v[19:20], v22, off
	s_wait_dscnt 0x0
	global_store_b32 v[23:24], v2, off
	s_and_b32 exec_lo, exec_lo, vcc_lo
	s_cbranch_execz .LBB0_28
; %bb.27:
	ds_load_b32 v2, v4 offset:2464
	s_wait_dscnt 0x0
	global_store_b32 v[0:1], v2, off offset:2464
.LBB0_28:
	s_nop 0
	s_sendmsg sendmsg(MSG_DEALLOC_VGPRS)
	s_endpgm
	.section	.rodata,"a",@progbits
	.p2align	6, 0x0
	.amdhsa_kernel fft_rtc_fwd_len616_factors_11_7_8_wgs_88_tpt_88_half_op_CI_CI_unitstride_sbrr_R2C_dirReg
		.amdhsa_group_segment_fixed_size 0
		.amdhsa_private_segment_fixed_size 0
		.amdhsa_kernarg_size 104
		.amdhsa_user_sgpr_count 2
		.amdhsa_user_sgpr_dispatch_ptr 0
		.amdhsa_user_sgpr_queue_ptr 0
		.amdhsa_user_sgpr_kernarg_segment_ptr 1
		.amdhsa_user_sgpr_dispatch_id 0
		.amdhsa_user_sgpr_private_segment_size 0
		.amdhsa_wavefront_size32 1
		.amdhsa_uses_dynamic_stack 0
		.amdhsa_enable_private_segment 0
		.amdhsa_system_sgpr_workgroup_id_x 1
		.amdhsa_system_sgpr_workgroup_id_y 0
		.amdhsa_system_sgpr_workgroup_id_z 0
		.amdhsa_system_sgpr_workgroup_info 0
		.amdhsa_system_vgpr_workitem_id 0
		.amdhsa_next_free_vgpr 74
		.amdhsa_next_free_sgpr 39
		.amdhsa_reserve_vcc 1
		.amdhsa_float_round_mode_32 0
		.amdhsa_float_round_mode_16_64 0
		.amdhsa_float_denorm_mode_32 3
		.amdhsa_float_denorm_mode_16_64 3
		.amdhsa_fp16_overflow 0
		.amdhsa_workgroup_processor_mode 1
		.amdhsa_memory_ordered 1
		.amdhsa_forward_progress 0
		.amdhsa_round_robin_scheduling 0
		.amdhsa_exception_fp_ieee_invalid_op 0
		.amdhsa_exception_fp_denorm_src 0
		.amdhsa_exception_fp_ieee_div_zero 0
		.amdhsa_exception_fp_ieee_overflow 0
		.amdhsa_exception_fp_ieee_underflow 0
		.amdhsa_exception_fp_ieee_inexact 0
		.amdhsa_exception_int_div_zero 0
	.end_amdhsa_kernel
	.text
.Lfunc_end0:
	.size	fft_rtc_fwd_len616_factors_11_7_8_wgs_88_tpt_88_half_op_CI_CI_unitstride_sbrr_R2C_dirReg, .Lfunc_end0-fft_rtc_fwd_len616_factors_11_7_8_wgs_88_tpt_88_half_op_CI_CI_unitstride_sbrr_R2C_dirReg
                                        ; -- End function
	.section	.AMDGPU.csdata,"",@progbits
; Kernel info:
; codeLenInByte = 7576
; NumSgprs: 41
; NumVgprs: 74
; ScratchSize: 0
; MemoryBound: 0
; FloatMode: 240
; IeeeMode: 1
; LDSByteSize: 0 bytes/workgroup (compile time only)
; SGPRBlocks: 5
; VGPRBlocks: 9
; NumSGPRsForWavesPerEU: 41
; NumVGPRsForWavesPerEU: 74
; Occupancy: 16
; WaveLimiterHint : 1
; COMPUTE_PGM_RSRC2:SCRATCH_EN: 0
; COMPUTE_PGM_RSRC2:USER_SGPR: 2
; COMPUTE_PGM_RSRC2:TRAP_HANDLER: 0
; COMPUTE_PGM_RSRC2:TGID_X_EN: 1
; COMPUTE_PGM_RSRC2:TGID_Y_EN: 0
; COMPUTE_PGM_RSRC2:TGID_Z_EN: 0
; COMPUTE_PGM_RSRC2:TIDIG_COMP_CNT: 0
	.text
	.p2alignl 7, 3214868480
	.fill 96, 4, 3214868480
	.type	__hip_cuid_682b1cf4714844c9,@object ; @__hip_cuid_682b1cf4714844c9
	.section	.bss,"aw",@nobits
	.globl	__hip_cuid_682b1cf4714844c9
__hip_cuid_682b1cf4714844c9:
	.byte	0                               ; 0x0
	.size	__hip_cuid_682b1cf4714844c9, 1

	.ident	"AMD clang version 19.0.0git (https://github.com/RadeonOpenCompute/llvm-project roc-6.4.0 25133 c7fe45cf4b819c5991fe208aaa96edf142730f1d)"
	.section	".note.GNU-stack","",@progbits
	.addrsig
	.addrsig_sym __hip_cuid_682b1cf4714844c9
	.amdgpu_metadata
---
amdhsa.kernels:
  - .args:
      - .actual_access:  read_only
        .address_space:  global
        .offset:         0
        .size:           8
        .value_kind:     global_buffer
      - .offset:         8
        .size:           8
        .value_kind:     by_value
      - .actual_access:  read_only
        .address_space:  global
        .offset:         16
        .size:           8
        .value_kind:     global_buffer
      - .actual_access:  read_only
        .address_space:  global
        .offset:         24
        .size:           8
        .value_kind:     global_buffer
      - .actual_access:  read_only
        .address_space:  global
        .offset:         32
        .size:           8
        .value_kind:     global_buffer
      - .offset:         40
        .size:           8
        .value_kind:     by_value
      - .actual_access:  read_only
        .address_space:  global
        .offset:         48
        .size:           8
        .value_kind:     global_buffer
      - .actual_access:  read_only
        .address_space:  global
        .offset:         56
        .size:           8
        .value_kind:     global_buffer
      - .offset:         64
        .size:           4
        .value_kind:     by_value
      - .actual_access:  read_only
        .address_space:  global
        .offset:         72
        .size:           8
        .value_kind:     global_buffer
      - .actual_access:  read_only
        .address_space:  global
        .offset:         80
        .size:           8
        .value_kind:     global_buffer
      - .actual_access:  read_only
        .address_space:  global
        .offset:         88
        .size:           8
        .value_kind:     global_buffer
      - .actual_access:  write_only
        .address_space:  global
        .offset:         96
        .size:           8
        .value_kind:     global_buffer
    .group_segment_fixed_size: 0
    .kernarg_segment_align: 8
    .kernarg_segment_size: 104
    .language:       OpenCL C
    .language_version:
      - 2
      - 0
    .max_flat_workgroup_size: 88
    .name:           fft_rtc_fwd_len616_factors_11_7_8_wgs_88_tpt_88_half_op_CI_CI_unitstride_sbrr_R2C_dirReg
    .private_segment_fixed_size: 0
    .sgpr_count:     41
    .sgpr_spill_count: 0
    .symbol:         fft_rtc_fwd_len616_factors_11_7_8_wgs_88_tpt_88_half_op_CI_CI_unitstride_sbrr_R2C_dirReg.kd
    .uniform_work_group_size: 1
    .uses_dynamic_stack: false
    .vgpr_count:     74
    .vgpr_spill_count: 0
    .wavefront_size: 32
    .workgroup_processor_mode: 1
amdhsa.target:   amdgcn-amd-amdhsa--gfx1201
amdhsa.version:
  - 1
  - 2
...

	.end_amdgpu_metadata
